;; amdgpu-corpus repo=ROCm/rocFFT kind=compiled arch=gfx950 opt=O3
	.text
	.amdgcn_target "amdgcn-amd-amdhsa--gfx950"
	.amdhsa_code_object_version 6
	.protected	fft_rtc_back_len416_factors_13_2_16_wgs_64_tpt_32_dp_op_CI_CI_sbrr_dirReg ; -- Begin function fft_rtc_back_len416_factors_13_2_16_wgs_64_tpt_32_dp_op_CI_CI_sbrr_dirReg
	.globl	fft_rtc_back_len416_factors_13_2_16_wgs_64_tpt_32_dp_op_CI_CI_sbrr_dirReg
	.p2align	8
	.type	fft_rtc_back_len416_factors_13_2_16_wgs_64_tpt_32_dp_op_CI_CI_sbrr_dirReg,@function
fft_rtc_back_len416_factors_13_2_16_wgs_64_tpt_32_dp_op_CI_CI_sbrr_dirReg: ; @fft_rtc_back_len416_factors_13_2_16_wgs_64_tpt_32_dp_op_CI_CI_sbrr_dirReg
; %bb.0:
	s_load_dwordx4 s[12:15], s[0:1], 0x18
	s_load_dwordx4 s[8:11], s[0:1], 0x0
	;; [unrolled: 1-line block ×3, first 2 shown]
	v_lshrrev_b32_e32 v1, 5, v0
	v_lshl_or_b32 v6, s2, 1, v1
	s_waitcnt lgkmcnt(0)
	s_load_dwordx2 s[18:19], s[12:13], 0x0
	s_load_dwordx2 s[16:17], s[14:15], 0x0
	v_mov_b32_e32 v4, 0
	v_cmp_lt_u64_e64 s[2:3], s[10:11], 2
	v_mov_b32_e32 v7, v4
	s_and_b64 vcc, exec, s[2:3]
	v_mov_b64_e32 v[2:3], 0
	s_cbranch_vccnz .LBB0_8
; %bb.1:
	s_load_dwordx2 s[2:3], s[0:1], 0x10
	s_add_u32 s20, s14, 8
	s_addc_u32 s21, s15, 0
	s_add_u32 s22, s12, 8
	s_addc_u32 s23, s13, 0
	s_waitcnt lgkmcnt(0)
	s_add_u32 s24, s2, 8
	v_mov_b64_e32 v[2:3], 0
	s_addc_u32 s25, s3, 0
	s_mov_b64 s[26:27], 1
	v_mov_b64_e32 v[66:67], v[2:3]
.LBB0_2:                                ; =>This Inner Loop Header: Depth=1
	s_load_dwordx2 s[28:29], s[24:25], 0x0
                                        ; implicit-def: $vgpr68_vgpr69
	s_waitcnt lgkmcnt(0)
	v_or_b32_e32 v5, s29, v7
	v_cmp_ne_u64_e32 vcc, 0, v[4:5]
	s_and_saveexec_b64 s[2:3], vcc
	s_xor_b64 s[30:31], exec, s[2:3]
	s_cbranch_execz .LBB0_4
; %bb.3:                                ;   in Loop: Header=BB0_2 Depth=1
	v_cvt_f32_u32_e32 v1, s28
	v_cvt_f32_u32_e32 v5, s29
	s_sub_u32 s2, 0, s28
	s_subb_u32 s3, 0, s29
	v_fmac_f32_e32 v1, 0x4f800000, v5
	v_rcp_f32_e32 v1, v1
	s_nop 0
	v_mul_f32_e32 v1, 0x5f7ffffc, v1
	v_mul_f32_e32 v5, 0x2f800000, v1
	v_trunc_f32_e32 v5, v5
	v_fmac_f32_e32 v1, 0xcf800000, v5
	v_cvt_u32_f32_e32 v5, v5
	v_cvt_u32_f32_e32 v1, v1
	v_mul_lo_u32 v8, s2, v5
	v_mul_hi_u32 v10, s2, v1
	v_mul_lo_u32 v9, s3, v1
	v_add_u32_e32 v10, v10, v8
	v_mul_lo_u32 v12, s2, v1
	v_add_u32_e32 v13, v10, v9
	v_mul_hi_u32 v8, v1, v12
	v_mul_hi_u32 v11, v1, v13
	v_mul_lo_u32 v10, v1, v13
	v_mov_b32_e32 v9, v4
	v_lshl_add_u64 v[8:9], v[8:9], 0, v[10:11]
	v_mul_hi_u32 v11, v5, v12
	v_mul_lo_u32 v12, v5, v12
	v_add_co_u32_e32 v8, vcc, v8, v12
	v_mul_hi_u32 v10, v5, v13
	s_nop 0
	v_addc_co_u32_e32 v8, vcc, v9, v11, vcc
	v_mov_b32_e32 v9, v4
	s_nop 0
	v_addc_co_u32_e32 v11, vcc, 0, v10, vcc
	v_mul_lo_u32 v10, v5, v13
	v_lshl_add_u64 v[8:9], v[8:9], 0, v[10:11]
	v_add_co_u32_e32 v1, vcc, v1, v8
	v_mul_lo_u32 v10, s2, v1
	s_nop 0
	v_addc_co_u32_e32 v5, vcc, v5, v9, vcc
	v_mul_lo_u32 v8, s2, v5
	v_mul_hi_u32 v9, s2, v1
	v_add_u32_e32 v8, v9, v8
	v_mul_lo_u32 v9, s3, v1
	v_add_u32_e32 v12, v8, v9
	v_mul_hi_u32 v14, v5, v10
	v_mul_lo_u32 v15, v5, v10
	v_mul_hi_u32 v9, v1, v12
	v_mul_lo_u32 v8, v1, v12
	v_mul_hi_u32 v10, v1, v10
	v_mov_b32_e32 v11, v4
	v_lshl_add_u64 v[8:9], v[10:11], 0, v[8:9]
	v_add_co_u32_e32 v8, vcc, v8, v15
	v_mul_hi_u32 v13, v5, v12
	s_nop 0
	v_addc_co_u32_e32 v8, vcc, v9, v14, vcc
	v_mul_lo_u32 v10, v5, v12
	s_nop 0
	v_addc_co_u32_e32 v11, vcc, 0, v13, vcc
	v_mov_b32_e32 v9, v4
	v_lshl_add_u64 v[8:9], v[8:9], 0, v[10:11]
	v_add_co_u32_e32 v1, vcc, v1, v8
	v_mul_hi_u32 v10, v6, v1
	s_nop 0
	v_addc_co_u32_e32 v5, vcc, v5, v9, vcc
	v_mad_u64_u32 v[8:9], s[2:3], v6, v5, 0
	v_mov_b32_e32 v11, v4
	v_lshl_add_u64 v[8:9], v[10:11], 0, v[8:9]
	v_mad_u64_u32 v[12:13], s[2:3], v7, v1, 0
	v_add_co_u32_e32 v1, vcc, v8, v12
	v_mad_u64_u32 v[10:11], s[2:3], v7, v5, 0
	s_nop 0
	v_addc_co_u32_e32 v8, vcc, v9, v13, vcc
	v_mov_b32_e32 v9, v4
	s_nop 0
	v_addc_co_u32_e32 v11, vcc, 0, v11, vcc
	v_lshl_add_u64 v[8:9], v[8:9], 0, v[10:11]
	v_mul_lo_u32 v1, s29, v8
	v_mul_lo_u32 v5, s28, v9
	v_mad_u64_u32 v[10:11], s[2:3], s28, v8, 0
	v_add3_u32 v1, v11, v5, v1
	v_sub_u32_e32 v5, v7, v1
	v_mov_b32_e32 v11, s29
	v_sub_co_u32_e32 v14, vcc, v6, v10
	v_lshl_add_u64 v[12:13], v[8:9], 0, 1
	s_nop 0
	v_subb_co_u32_e64 v5, s[2:3], v5, v11, vcc
	v_subrev_co_u32_e64 v10, s[2:3], s28, v14
	v_subb_co_u32_e32 v1, vcc, v7, v1, vcc
	s_nop 0
	v_subbrev_co_u32_e64 v5, s[2:3], 0, v5, s[2:3]
	v_cmp_le_u32_e64 s[2:3], s29, v5
	v_cmp_le_u32_e32 vcc, s29, v1
	s_nop 0
	v_cndmask_b32_e64 v11, 0, -1, s[2:3]
	v_cmp_le_u32_e64 s[2:3], s28, v10
	s_nop 1
	v_cndmask_b32_e64 v10, 0, -1, s[2:3]
	v_cmp_eq_u32_e64 s[2:3], s29, v5
	s_nop 1
	v_cndmask_b32_e64 v5, v11, v10, s[2:3]
	v_lshl_add_u64 v[10:11], v[8:9], 0, 2
	v_cmp_ne_u32_e64 s[2:3], 0, v5
	s_nop 1
	v_cndmask_b32_e64 v5, v13, v11, s[2:3]
	v_cndmask_b32_e64 v11, 0, -1, vcc
	v_cmp_le_u32_e32 vcc, s28, v14
	s_nop 1
	v_cndmask_b32_e64 v13, 0, -1, vcc
	v_cmp_eq_u32_e32 vcc, s29, v1
	s_nop 1
	v_cndmask_b32_e32 v1, v11, v13, vcc
	v_cmp_ne_u32_e32 vcc, 0, v1
	v_cndmask_b32_e64 v1, v12, v10, s[2:3]
	s_nop 0
	v_cndmask_b32_e32 v69, v9, v5, vcc
	v_cndmask_b32_e32 v68, v8, v1, vcc
.LBB0_4:                                ;   in Loop: Header=BB0_2 Depth=1
	s_andn2_saveexec_b64 s[2:3], s[30:31]
	s_cbranch_execz .LBB0_6
; %bb.5:                                ;   in Loop: Header=BB0_2 Depth=1
	v_cvt_f32_u32_e32 v1, s28
	s_sub_i32 s30, 0, s28
	v_mov_b32_e32 v69, v4
	v_rcp_iflag_f32_e32 v1, v1
	s_nop 0
	v_mul_f32_e32 v1, 0x4f7ffffe, v1
	v_cvt_u32_f32_e32 v1, v1
	v_mul_lo_u32 v5, s30, v1
	v_mul_hi_u32 v5, v1, v5
	v_add_u32_e32 v1, v1, v5
	v_mul_hi_u32 v1, v6, v1
	v_mul_lo_u32 v5, v1, s28
	v_sub_u32_e32 v5, v6, v5
	v_add_u32_e32 v8, 1, v1
	v_subrev_u32_e32 v9, s28, v5
	v_cmp_le_u32_e32 vcc, s28, v5
	s_nop 1
	v_cndmask_b32_e32 v5, v5, v9, vcc
	v_cndmask_b32_e32 v1, v1, v8, vcc
	v_add_u32_e32 v8, 1, v1
	v_cmp_le_u32_e32 vcc, s28, v5
	s_nop 1
	v_cndmask_b32_e32 v68, v1, v8, vcc
.LBB0_6:                                ;   in Loop: Header=BB0_2 Depth=1
	s_or_b64 exec, exec, s[2:3]
	v_mad_u64_u32 v[8:9], s[2:3], v68, s28, 0
	s_load_dwordx2 s[2:3], s[22:23], 0x0
	v_mul_lo_u32 v1, v69, s28
	v_mul_lo_u32 v5, v68, s29
	s_load_dwordx2 s[28:29], s[20:21], 0x0
	s_add_u32 s26, s26, 1
	v_add3_u32 v1, v9, v5, v1
	v_sub_co_u32_e32 v5, vcc, v6, v8
	s_addc_u32 s27, s27, 0
	s_nop 0
	v_subb_co_u32_e32 v1, vcc, v7, v1, vcc
	s_add_u32 s20, s20, 8
	s_waitcnt lgkmcnt(0)
	v_mul_lo_u32 v6, s2, v1
	v_mul_lo_u32 v7, s3, v5
	v_mad_u64_u32 v[2:3], s[2:3], s2, v5, v[2:3]
	s_addc_u32 s21, s21, 0
	v_add3_u32 v3, v7, v3, v6
	v_mul_lo_u32 v1, s28, v1
	v_mul_lo_u32 v6, s29, v5
	v_mad_u64_u32 v[66:67], s[2:3], s28, v5, v[66:67]
	s_add_u32 s22, s22, 8
	v_add3_u32 v67, v6, v67, v1
	s_addc_u32 s23, s23, 0
	v_mov_b64_e32 v[6:7], s[10:11]
	s_add_u32 s24, s24, 8
	v_cmp_ge_u64_e32 vcc, s[26:27], v[6:7]
	s_addc_u32 s25, s25, 0
	s_cbranch_vccnz .LBB0_9
; %bb.7:                                ;   in Loop: Header=BB0_2 Depth=1
	v_mov_b64_e32 v[6:7], v[68:69]
	s_branch .LBB0_2
.LBB0_8:
	v_mov_b64_e32 v[66:67], v[2:3]
	v_mov_b64_e32 v[68:69], v[6:7]
.LBB0_9:
	s_load_dwordx2 s[0:1], s[0:1], 0x28
	s_lshl_b64 s[10:11], s[10:11], 3
	s_add_u32 s2, s14, s10
	s_addc_u32 s3, s15, s11
	v_and_b32_e32 v80, 31, v0
	s_waitcnt lgkmcnt(0)
	v_cmp_gt_u64_e32 vcc, s[0:1], v[68:69]
	v_cmp_le_u64_e64 s[0:1], s[0:1], v[68:69]
                                        ; implicit-def: $vgpr81
                                        ; implicit-def: $vgpr82
                                        ; implicit-def: $vgpr83
                                        ; implicit-def: $vgpr84
                                        ; implicit-def: $vgpr85
                                        ; implicit-def: $vgpr86
	s_and_saveexec_b64 s[14:15], s[0:1]
	s_xor_b64 s[0:1], exec, s[14:15]
; %bb.10:
	v_and_b32_e32 v80, 31, v0
	v_or_b32_e32 v81, 32, v80
	v_or_b32_e32 v82, 64, v80
	;; [unrolled: 1-line block ×6, first 2 shown]
                                        ; implicit-def: $vgpr2_vgpr3
; %bb.11:
	s_or_saveexec_b64 s[0:1], s[0:1]
                                        ; implicit-def: $vgpr44_vgpr45
                                        ; implicit-def: $vgpr40_vgpr41
                                        ; implicit-def: $vgpr32_vgpr33
                                        ; implicit-def: $vgpr24_vgpr25
                                        ; implicit-def: $vgpr20_vgpr21
                                        ; implicit-def: $vgpr12_vgpr13
                                        ; implicit-def: $vgpr28_vgpr29
                                        ; implicit-def: $vgpr48_vgpr49
                                        ; implicit-def: $vgpr52_vgpr53
                                        ; implicit-def: $vgpr56_vgpr57
                                        ; implicit-def: $vgpr36_vgpr37
                                        ; implicit-def: $vgpr16_vgpr17
                                        ; implicit-def: $vgpr8_vgpr9
	s_xor_b64 exec, exec, s[0:1]
	s_cbranch_execz .LBB0_13
; %bb.12:
	s_add_u32 s10, s12, s10
	s_addc_u32 s11, s13, s11
	s_load_dwordx2 s[10:11], s[10:11], 0x0
	v_or_b32_e32 v81, 32, v80
	v_or_b32_e32 v82, 64, v80
	;; [unrolled: 1-line block ×4, first 2 shown]
	s_waitcnt lgkmcnt(0)
	v_mul_lo_u32 v1, s11, v68
	v_mul_lo_u32 v6, s10, v69
	v_mad_u64_u32 v[4:5], s[10:11], s10, v68, 0
	v_add3_u32 v5, v5, v6, v1
	v_mad_u64_u32 v[6:7], s[10:11], s18, v80, 0
	v_mov_b32_e32 v8, v7
	v_mad_u64_u32 v[8:9], s[10:11], s19, v80, v[8:9]
	v_lshl_add_u64 v[4:5], v[4:5], 4, s[4:5]
	v_mov_b32_e32 v7, v8
	v_lshl_add_u64 v[2:3], v[2:3], 4, v[4:5]
	v_lshl_add_u64 v[4:5], v[6:7], 4, v[2:3]
	v_mad_u64_u32 v[6:7], s[4:5], s18, v81, 0
	v_mov_b32_e32 v8, v7
	v_mad_u64_u32 v[8:9], s[4:5], s19, v81, v[8:9]
	v_mov_b32_e32 v7, v8
	v_lshl_add_u64 v[10:11], v[6:7], 4, v[2:3]
	global_load_dwordx4 v[6:9], v[4:5], off
	global_load_dwordx4 v[42:45], v[10:11], off
	v_mad_u64_u32 v[4:5], s[4:5], s18, v82, 0
	v_mov_b32_e32 v10, v5
	v_mad_u64_u32 v[10:11], s[4:5], s19, v82, v[10:11]
	v_mov_b32_e32 v5, v10
	v_mad_u64_u32 v[10:11], s[4:5], s18, v83, 0
	v_mov_b32_e32 v12, v11
	v_mad_u64_u32 v[12:13], s[4:5], s19, v83, v[12:13]
	v_lshl_add_u64 v[4:5], v[4:5], 4, v[2:3]
	v_mov_b32_e32 v11, v12
	v_lshl_add_u64 v[10:11], v[10:11], 4, v[2:3]
	global_load_dwordx4 v[38:41], v[4:5], off
	global_load_dwordx4 v[30:33], v[10:11], off
	v_mad_u64_u32 v[4:5], s[4:5], s18, v84, 0
	v_mov_b32_e32 v10, v5
	v_mad_u64_u32 v[10:11], s[4:5], s19, v84, v[10:11]
	v_or_b32_e32 v85, 0xa0, v80
	v_mov_b32_e32 v5, v10
	v_mad_u64_u32 v[10:11], s[4:5], s18, v85, 0
	v_mov_b32_e32 v12, v11
	v_mad_u64_u32 v[12:13], s[4:5], s19, v85, v[12:13]
	v_lshl_add_u64 v[4:5], v[4:5], 4, v[2:3]
	v_mov_b32_e32 v11, v12
	v_or_b32_e32 v86, 0xc0, v80
	v_lshl_add_u64 v[10:11], v[10:11], 4, v[2:3]
	global_load_dwordx4 v[22:25], v[4:5], off
	global_load_dwordx4 v[18:21], v[10:11], off
	v_mad_u64_u32 v[4:5], s[4:5], s18, v86, 0
	v_mov_b32_e32 v10, v5
	v_mad_u64_u32 v[10:11], s[4:5], s19, v86, v[10:11]
	v_or_b32_e32 v1, 0xe0, v80
	v_mov_b32_e32 v5, v10
	v_mad_u64_u32 v[10:11], s[4:5], s18, v1, 0
	v_mov_b32_e32 v12, v11
	v_mad_u64_u32 v[12:13], s[4:5], s19, v1, v[12:13]
	v_lshl_add_u64 v[4:5], v[4:5], 4, v[2:3]
	v_mov_b32_e32 v11, v12
	v_or_b32_e32 v1, 0x100, v80
	;; [unrolled: 14-line block ×3, first 2 shown]
	v_lshl_add_u64 v[46:47], v[26:27], 4, v[2:3]
	global_load_dwordx4 v[26:29], v[4:5], off
	global_load_dwordx4 v[34:37], v[46:47], off
	v_mad_u64_u32 v[4:5], s[4:5], s18, v1, 0
	v_mov_b32_e32 v46, v5
	v_mad_u64_u32 v[46:47], s[4:5], s19, v1, v[46:47]
	v_or_b32_e32 v1, 0x160, v80
	v_mov_b32_e32 v5, v46
	v_mad_u64_u32 v[46:47], s[4:5], s18, v1, 0
	v_mov_b32_e32 v48, v47
	v_mad_u64_u32 v[48:49], s[4:5], s19, v1, v[48:49]
	v_mov_b32_e32 v47, v48
	v_or_b32_e32 v1, 0x180, v80
	v_lshl_add_u64 v[58:59], v[46:47], 4, v[2:3]
	v_mad_u64_u32 v[46:47], s[4:5], s18, v1, 0
	v_mov_b32_e32 v48, v47
	v_mad_u64_u32 v[48:49], s[4:5], s19, v1, v[48:49]
	v_lshl_add_u64 v[4:5], v[4:5], 4, v[2:3]
	v_mov_b32_e32 v47, v48
	v_lshl_add_u64 v[2:3], v[46:47], 4, v[2:3]
	global_load_dwordx4 v[46:49], v[4:5], off
	global_load_dwordx4 v[50:53], v[58:59], off
	;; [unrolled: 1-line block ×3, first 2 shown]
.LBB0_13:
	s_or_b64 exec, exec, s[0:1]
	s_waitcnt vmcnt(11)
	v_add_f64 v[4:5], v[44:45], v[8:9]
	v_add_f64 v[2:3], v[42:43], v[6:7]
	s_waitcnt vmcnt(10)
	v_add_f64 v[4:5], v[40:41], v[4:5]
	v_add_f64 v[2:3], v[38:39], v[2:3]
	;; [unrolled: 3-line block ×10, first 2 shown]
	s_waitcnt vmcnt(1)
	v_add_f64 v[4:5], v[52:53], v[4:5]
	s_mov_b32 s26, 0x42a4c3d2
	s_mov_b32 s28, 0x66966769
	;; [unrolled: 1-line block ×5, first 2 shown]
	v_add_f64 v[2:3], v[50:51], v[2:3]
	s_waitcnt vmcnt(0)
	v_add_f64 v[4:5], v[56:57], v[4:5]
	v_add_f64 v[58:59], v[44:45], v[56:57]
	v_add_f64 v[56:57], v[44:45], -v[56:57]
	s_mov_b32 s21, 0xbfddbe06
	s_mov_b32 s20, 0x4267c47c
	;; [unrolled: 1-line block ×13, first 2 shown]
	v_add_f64 v[2:3], v[54:55], v[2:3]
	v_add_f64 v[60:61], v[42:43], v[54:55]
	v_add_f64 v[54:55], v[42:43], -v[54:55]
	v_add_f64 v[42:43], v[40:41], v[52:53]
	v_add_f64 v[40:41], v[40:41], -v[52:53]
	v_add_f64 v[52:53], v[30:31], v[46:47]
	v_add_f64 v[30:31], v[30:31], -v[46:47]
	v_add_f64 v[46:47], v[24:25], v[36:37]
	v_add_f64 v[24:25], v[24:25], -v[36:37]
	v_add_f64 v[36:37], v[18:19], v[26:27]
	v_add_f64 v[26:27], v[18:19], -v[26:27]
	v_add_f64 v[64:65], v[10:11], v[14:15]
	v_add_f64 v[70:71], v[14:15], -v[10:11]
	v_mul_f64 v[10:11], v[56:57], s[20:21]
	s_mov_b32 s5, 0x3fec55a7
	s_mov_b32 s1, 0x3fe22d96
	v_mul_f64 v[14:15], v[56:57], s[26:27]
	s_mov_b32 s11, 0x3fbedb7d
	v_mul_f64 v[18:19], v[56:57], s[28:29]
	;; [unrolled: 2-line block ×4, first 2 shown]
	v_mul_f64 v[56:57], v[56:57], s[34:35]
	s_mov_b32 s25, 0xbfef11f4
	v_add_f64 v[44:45], v[38:39], v[50:51]
	v_add_f64 v[38:39], v[38:39], -v[50:51]
	v_add_f64 v[50:51], v[32:33], v[48:49]
	v_add_f64 v[32:33], v[32:33], -v[48:49]
	;; [unrolled: 2-line block ×5, first 2 shown]
	v_fma_f64 v[12:13], s[4:5], v[60:61], v[10:11]
	v_fma_f64 v[10:11], v[60:61], s[4:5], -v[10:11]
	v_fma_f64 v[16:17], s[0:1], v[60:61], v[14:15]
	v_fma_f64 v[14:15], v[60:61], s[0:1], -v[14:15]
	;; [unrolled: 2-line block ×6, first 2 shown]
	v_mul_f64 v[60:61], v[54:55], s[20:21]
	v_fma_f64 v[78:79], v[58:59], s[4:5], -v[60:61]
	v_fmac_f64_e32 v[60:61], s[4:5], v[58:59]
	v_mul_f64 v[94:95], v[54:55], s[26:27]
	v_mul_f64 v[98:99], v[54:55], s[28:29]
	;; [unrolled: 1-line block ×5, first 2 shown]
	v_fma_f64 v[96:97], v[58:59], s[0:1], -v[94:95]
	v_fmac_f64_e32 v[94:95], s[0:1], v[58:59]
	v_fma_f64 v[100:101], v[58:59], s[10:11], -v[98:99]
	v_fmac_f64_e32 v[98:99], s[10:11], v[58:59]
	;; [unrolled: 2-line block ×5, first 2 shown]
	v_add_f64 v[12:13], v[12:13], v[6:7]
	v_add_f64 v[114:115], v[10:11], v[6:7]
	;; [unrolled: 1-line block ×13, first 2 shown]
	v_mul_f64 v[6:7], v[40:41], s[26:27]
	v_add_f64 v[112:113], v[78:79], v[8:9]
	v_add_f64 v[96:97], v[96:97], v[8:9]
	;; [unrolled: 1-line block ×11, first 2 shown]
	v_fma_f64 v[8:9], s[0:1], v[44:45], v[6:7]
	v_mul_f64 v[18:19], v[38:39], s[26:27]
	v_mul_f64 v[20:21], v[32:33], s[28:29]
	v_add_f64 v[8:9], v[8:9], v[12:13]
	v_fma_f64 v[10:11], v[42:43], s[0:1], -v[18:19]
	v_fma_f64 v[12:13], s[10:11], v[52:53], v[20:21]
	v_mul_f64 v[88:89], v[30:31], s[28:29]
	v_add_f64 v[10:11], v[10:11], v[112:113]
	v_add_f64 v[8:9], v[12:13], v[8:9]
	v_fma_f64 v[12:13], v[50:51], s[10:11], -v[88:89]
	v_mul_f64 v[90:91], v[24:25], s[18:19]
	v_add_f64 v[10:11], v[12:13], v[10:11]
	v_fma_f64 v[12:13], s[12:13], v[48:49], v[90:91]
	v_mul_f64 v[92:93], v[22:23], s[18:19]
	v_add_f64 v[8:9], v[12:13], v[8:9]
	v_fma_f64 v[12:13], v[46:47], s[12:13], -v[92:93]
	v_mul_f64 v[106:107], v[28:29], s[22:23]
	v_add_f64 v[10:11], v[12:13], v[10:11]
	v_fma_f64 v[12:13], s[14:15], v[36:37], v[106:107]
	v_mul_f64 v[108:109], v[26:27], s[22:23]
	v_fmac_f64_e32 v[18:19], s[0:1], v[42:43]
	v_add_f64 v[8:9], v[12:13], v[8:9]
	v_fma_f64 v[12:13], v[34:35], s[14:15], -v[108:109]
	v_mul_f64 v[110:111], v[72:73], s[34:35]
	v_add_f64 v[18:19], v[18:19], v[116:117]
	v_fmac_f64_e32 v[88:89], s[10:11], v[50:51]
	v_add_f64 v[12:13], v[12:13], v[10:11]
	v_fma_f64 v[10:11], s[24:25], v[64:65], v[110:111]
	v_fma_f64 v[6:7], v[44:45], s[0:1], -v[6:7]
	v_add_f64 v[18:19], v[88:89], v[18:19]
	v_fmac_f64_e32 v[92:93], s[12:13], v[46:47]
	v_add_f64 v[10:11], v[10:11], v[8:9]
	v_mul_f64 v[8:9], v[70:71], s[34:35]
	v_add_f64 v[6:7], v[6:7], v[114:115]
	v_fma_f64 v[20:21], v[52:53], s[10:11], -v[20:21]
	v_add_f64 v[18:19], v[92:93], v[18:19]
	v_fmac_f64_e32 v[108:109], s[14:15], v[34:35]
	v_fma_f64 v[112:113], v[62:63], s[24:25], -v[8:9]
	v_add_f64 v[6:7], v[20:21], v[6:7]
	v_fma_f64 v[20:21], v[48:49], s[12:13], -v[90:91]
	v_add_f64 v[18:19], v[108:109], v[18:19]
	v_fmac_f64_e32 v[8:9], s[24:25], v[62:63]
	v_mul_f64 v[88:89], v[40:41], s[18:19]
	v_add_f64 v[6:7], v[20:21], v[6:7]
	v_fma_f64 v[20:21], v[36:37], s[14:15], -v[106:107]
	v_add_f64 v[8:9], v[8:9], v[18:19]
	v_fma_f64 v[18:19], s[12:13], v[44:45], v[88:89]
	v_mul_f64 v[90:91], v[38:39], s[18:19]
	v_add_f64 v[6:7], v[20:21], v[6:7]
	v_fma_f64 v[20:21], v[64:65], s[24:25], -v[110:111]
	v_add_f64 v[16:17], v[18:19], v[16:17]
	v_fma_f64 v[18:19], v[42:43], s[12:13], -v[90:91]
	v_mul_f64 v[92:93], v[32:33], s[34:35]
	v_add_f64 v[6:7], v[20:21], v[6:7]
	v_add_f64 v[18:19], v[18:19], v[96:97]
	v_fma_f64 v[20:21], s[24:25], v[52:53], v[92:93]
	v_mul_f64 v[96:97], v[30:31], s[34:35]
	s_mov_b32 s37, 0x3fe5384d
	s_mov_b32 s36, s22
	v_add_f64 v[16:17], v[20:21], v[16:17]
	v_fma_f64 v[20:21], v[50:51], s[24:25], -v[96:97]
	v_mul_f64 v[106:107], v[24:25], s[36:37]
	v_add_f64 v[18:19], v[20:21], v[18:19]
	v_fma_f64 v[20:21], s[14:15], v[48:49], v[106:107]
	v_mul_f64 v[108:109], v[22:23], s[36:37]
	s_mov_b32 s31, 0x3fefc445
	s_mov_b32 s30, s28
	v_add_f64 v[16:17], v[20:21], v[16:17]
	v_fma_f64 v[20:21], v[46:47], s[14:15], -v[108:109]
	v_mul_f64 v[110:111], v[28:29], s[30:31]
	v_add_f64 v[12:13], v[112:113], v[12:13]
	v_add_f64 v[18:19], v[20:21], v[18:19]
	v_fma_f64 v[20:21], s[10:11], v[36:37], v[110:111]
	v_mul_f64 v[112:113], v[26:27], s[30:31]
	s_mov_b32 s21, 0x3fddbe06
	v_fma_f64 v[88:89], v[44:45], s[12:13], -v[88:89]
	v_fmac_f64_e32 v[90:91], s[12:13], v[42:43]
	v_add_f64 v[16:17], v[20:21], v[16:17]
	v_fma_f64 v[20:21], v[34:35], s[10:11], -v[112:113]
	v_mul_f64 v[114:115], v[72:73], s[20:21]
	v_add_f64 v[14:15], v[88:89], v[14:15]
	v_add_f64 v[88:89], v[90:91], v[94:95]
	v_fma_f64 v[90:91], v[52:53], s[24:25], -v[92:93]
	v_fmac_f64_e32 v[96:97], s[24:25], v[50:51]
	v_add_f64 v[20:21], v[20:21], v[18:19]
	v_fma_f64 v[18:19], s[4:5], v[64:65], v[114:115]
	v_add_f64 v[14:15], v[90:91], v[14:15]
	v_add_f64 v[88:89], v[96:97], v[88:89]
	v_fma_f64 v[90:91], v[48:49], s[14:15], -v[106:107]
	v_fmac_f64_e32 v[108:109], s[14:15], v[46:47]
	v_add_f64 v[18:19], v[18:19], v[16:17]
	v_mul_f64 v[16:17], v[70:71], s[20:21]
	v_add_f64 v[14:15], v[90:91], v[14:15]
	v_add_f64 v[88:89], v[108:109], v[88:89]
	v_fma_f64 v[90:91], v[36:37], s[10:11], -v[110:111]
	v_fmac_f64_e32 v[112:113], s[10:11], v[34:35]
	v_fma_f64 v[116:117], v[62:63], s[4:5], -v[16:17]
	v_add_f64 v[14:15], v[90:91], v[14:15]
	v_add_f64 v[88:89], v[112:113], v[88:89]
	v_fma_f64 v[90:91], v[64:65], s[4:5], -v[114:115]
	v_fmac_f64_e32 v[16:17], s[4:5], v[62:63]
	v_mul_f64 v[92:93], v[40:41], s[34:35]
	v_mul_f64 v[94:95], v[38:39], s[34:35]
	s_mov_b32 s39, 0x3fedeba7
	s_mov_b32 s38, s18
	v_add_f64 v[14:15], v[90:91], v[14:15]
	v_add_f64 v[16:17], v[16:17], v[88:89]
	v_fma_f64 v[88:89], s[24:25], v[44:45], v[92:93]
	v_fma_f64 v[90:91], v[42:43], s[24:25], -v[94:95]
	v_mul_f64 v[96:97], v[32:33], s[38:39]
	v_add_f64 v[88:89], v[88:89], v[118:119]
	v_add_f64 v[90:91], v[90:91], v[100:101]
	v_fma_f64 v[100:101], s[12:13], v[52:53], v[96:97]
	v_add_f64 v[88:89], v[100:101], v[88:89]
	v_mul_f64 v[100:101], v[30:31], s[38:39]
	v_fma_f64 v[106:107], v[50:51], s[12:13], -v[100:101]
	v_add_f64 v[90:91], v[106:107], v[90:91]
	v_mul_f64 v[106:107], v[24:25], s[20:21]
	v_fma_f64 v[108:109], s[4:5], v[48:49], v[106:107]
	v_add_f64 v[88:89], v[108:109], v[88:89]
	v_mul_f64 v[108:109], v[22:23], s[20:21]
	v_fma_f64 v[110:111], v[46:47], s[4:5], -v[108:109]
	v_add_f64 v[90:91], v[110:111], v[90:91]
	v_mul_f64 v[110:111], v[28:29], s[26:27]
	v_fma_f64 v[112:113], s[0:1], v[36:37], v[110:111]
	v_fma_f64 v[92:93], v[44:45], s[24:25], -v[92:93]
	v_add_f64 v[88:89], v[112:113], v[88:89]
	v_mul_f64 v[112:113], v[26:27], s[26:27]
	v_add_f64 v[92:93], v[92:93], v[120:121]
	v_fma_f64 v[96:97], v[52:53], s[12:13], -v[96:97]
	v_fma_f64 v[114:115], v[34:35], s[0:1], -v[112:113]
	v_fmac_f64_e32 v[94:95], s[24:25], v[42:43]
	v_add_f64 v[92:93], v[96:97], v[92:93]
	v_fma_f64 v[96:97], v[48:49], s[4:5], -v[106:107]
	v_add_f64 v[90:91], v[114:115], v[90:91]
	v_mul_f64 v[114:115], v[72:73], s[22:23]
	v_add_f64 v[94:95], v[94:95], v[98:99]
	v_fmac_f64_e32 v[100:101], s[12:13], v[50:51]
	v_add_f64 v[92:93], v[96:97], v[92:93]
	v_fma_f64 v[96:97], v[36:37], s[0:1], -v[110:111]
	v_mul_f64 v[106:107], v[38:39], s[36:37]
	v_add_f64 v[94:95], v[100:101], v[94:95]
	v_add_f64 v[92:93], v[96:97], v[92:93]
	v_fma_f64 v[96:97], v[64:65], s[14:15], -v[114:115]
	v_mul_f64 v[100:101], v[40:41], s[36:37]
	v_fma_f64 v[98:99], v[42:43], s[14:15], -v[106:107]
	v_fmac_f64_e32 v[108:109], s[4:5], v[46:47]
	v_add_f64 v[92:93], v[96:97], v[92:93]
	v_fma_f64 v[96:97], s[14:15], v[44:45], v[100:101]
	v_add_f64 v[98:99], v[98:99], v[104:105]
	v_mul_f64 v[104:105], v[32:33], s[20:21]
	v_add_f64 v[94:95], v[108:109], v[94:95]
	v_add_f64 v[96:97], v[96:97], v[122:123]
	v_fma_f64 v[108:109], s[4:5], v[52:53], v[104:105]
	v_add_f64 v[96:97], v[108:109], v[96:97]
	v_mul_f64 v[108:109], v[30:31], s[20:21]
	v_fma_f64 v[110:111], v[50:51], s[4:5], -v[108:109]
	v_fmac_f64_e32 v[112:113], s[0:1], v[34:35]
	v_add_f64 v[98:99], v[110:111], v[98:99]
	v_mul_f64 v[110:111], v[24:25], s[28:29]
	v_add_f64 v[94:95], v[112:113], v[94:95]
	v_fma_f64 v[112:113], s[10:11], v[48:49], v[110:111]
	v_add_f64 v[20:21], v[116:117], v[20:21]
	v_fma_f64 v[116:117], s[14:15], v[64:65], v[114:115]
	v_add_f64 v[96:97], v[112:113], v[96:97]
	v_mul_f64 v[112:113], v[22:23], s[28:29]
	v_add_f64 v[88:89], v[116:117], v[88:89]
	v_mul_f64 v[116:117], v[70:71], s[22:23]
	v_fma_f64 v[114:115], v[46:47], s[10:11], -v[112:113]
	s_mov_b32 s35, 0x3fcea1e5
	v_fma_f64 v[118:119], v[62:63], s[14:15], -v[116:117]
	v_fmac_f64_e32 v[116:117], s[14:15], v[62:63]
	v_add_f64 v[98:99], v[114:115], v[98:99]
	v_mul_f64 v[114:115], v[28:29], s[34:35]
	v_add_f64 v[94:95], v[116:117], v[94:95]
	v_fma_f64 v[116:117], s[24:25], v[36:37], v[114:115]
	v_fma_f64 v[100:101], v[44:45], s[14:15], -v[100:101]
	v_add_f64 v[96:97], v[116:117], v[96:97]
	v_mul_f64 v[116:117], v[26:27], s[34:35]
	v_add_f64 v[100:101], v[100:101], v[124:125]
	v_fma_f64 v[104:105], v[52:53], s[4:5], -v[104:105]
	v_add_f64 v[90:91], v[118:119], v[90:91]
	v_fma_f64 v[118:119], v[34:35], s[24:25], -v[116:117]
	s_mov_b32 s29, 0x3fea55e2
	s_mov_b32 s28, s26
	v_fmac_f64_e32 v[106:107], s[14:15], v[42:43]
	v_add_f64 v[100:101], v[104:105], v[100:101]
	v_fma_f64 v[104:105], v[48:49], s[10:11], -v[110:111]
	v_add_f64 v[98:99], v[118:119], v[98:99]
	v_mul_f64 v[118:119], v[72:73], s[28:29]
	v_add_f64 v[102:103], v[106:107], v[102:103]
	v_fmac_f64_e32 v[108:109], s[4:5], v[50:51]
	v_add_f64 v[100:101], v[104:105], v[100:101]
	v_fma_f64 v[104:105], v[36:37], s[24:25], -v[114:115]
	v_add_f64 v[102:103], v[108:109], v[102:103]
	v_fmac_f64_e32 v[112:113], s[10:11], v[46:47]
	v_add_f64 v[100:101], v[104:105], v[100:101]
	v_fma_f64 v[104:105], v[64:65], s[0:1], -v[118:119]
	v_mul_f64 v[108:109], v[40:41], s[30:31]
	v_mul_f64 v[110:111], v[38:39], s[30:31]
	v_add_f64 v[102:103], v[112:113], v[102:103]
	v_add_f64 v[100:101], v[104:105], v[100:101]
	v_fma_f64 v[104:105], s[10:11], v[44:45], v[108:109]
	v_fma_f64 v[106:107], v[42:43], s[10:11], -v[110:111]
	v_mul_f64 v[112:113], v[32:33], s[26:27]
	v_fma_f64 v[120:121], s[0:1], v[64:65], v[118:119]
	v_fmac_f64_e32 v[116:117], s[24:25], v[34:35]
	v_add_f64 v[104:105], v[104:105], v[126:127]
	v_add_f64 v[78:79], v[106:107], v[78:79]
	v_fma_f64 v[106:107], s[0:1], v[52:53], v[112:113]
	v_mul_f64 v[114:115], v[30:31], s[26:27]
	v_add_f64 v[96:97], v[120:121], v[96:97]
	v_mul_f64 v[120:121], v[70:71], s[28:29]
	v_add_f64 v[102:103], v[116:117], v[102:103]
	v_add_f64 v[104:105], v[106:107], v[104:105]
	v_fma_f64 v[106:107], v[50:51], s[0:1], -v[114:115]
	v_mul_f64 v[116:117], v[24:25], s[34:35]
	v_fma_f64 v[122:123], v[62:63], s[0:1], -v[120:121]
	v_fmac_f64_e32 v[120:121], s[0:1], v[62:63]
	v_add_f64 v[78:79], v[106:107], v[78:79]
	v_fma_f64 v[106:107], s[24:25], v[48:49], v[116:117]
	v_mul_f64 v[118:119], v[22:23], s[34:35]
	v_add_f64 v[102:103], v[120:121], v[102:103]
	v_add_f64 v[104:105], v[106:107], v[104:105]
	v_fma_f64 v[106:107], v[46:47], s[24:25], -v[118:119]
	v_mul_f64 v[120:121], v[28:29], s[20:21]
	v_add_f64 v[98:99], v[122:123], v[98:99]
	v_add_f64 v[78:79], v[106:107], v[78:79]
	v_fma_f64 v[106:107], s[4:5], v[36:37], v[120:121]
	v_mul_f64 v[122:123], v[26:27], s[20:21]
	v_add_f64 v[104:105], v[106:107], v[104:105]
	v_fma_f64 v[106:107], v[34:35], s[4:5], -v[122:123]
	v_mul_f64 v[124:125], v[72:73], s[18:19]
	v_add_f64 v[78:79], v[106:107], v[78:79]
	v_fma_f64 v[106:107], s[12:13], v[64:65], v[124:125]
	v_mul_f64 v[126:127], v[70:71], s[18:19]
	v_add_f64 v[104:105], v[106:107], v[104:105]
	v_fma_f64 v[106:107], v[62:63], s[12:13], -v[126:127]
	v_add_f64 v[106:107], v[106:107], v[78:79]
	v_fma_f64 v[78:79], v[44:45], s[10:11], -v[108:109]
	v_fmac_f64_e32 v[110:111], s[10:11], v[42:43]
	v_add_f64 v[76:77], v[78:79], v[76:77]
	v_add_f64 v[74:75], v[110:111], v[74:75]
	v_fma_f64 v[78:79], v[52:53], s[0:1], -v[112:113]
	v_fmac_f64_e32 v[114:115], s[0:1], v[50:51]
	v_add_f64 v[76:77], v[78:79], v[76:77]
	;; [unrolled: 4-line block ×4, first 2 shown]
	v_add_f64 v[78:79], v[122:123], v[74:75]
	v_fma_f64 v[74:75], v[64:65], s[12:13], -v[124:125]
	v_fmac_f64_e32 v[126:127], s[12:13], v[62:63]
	v_mul_f64 v[40:41], v[40:41], s[20:21]
	v_add_f64 v[74:75], v[74:75], v[76:77]
	v_add_f64 v[76:77], v[126:127], v[78:79]
	v_fma_f64 v[78:79], s[4:5], v[44:45], v[40:41]
	v_mul_f64 v[38:39], v[38:39], s[20:21]
	v_add_f64 v[60:61], v[78:79], v[60:61]
	v_fma_f64 v[78:79], v[42:43], s[4:5], -v[38:39]
	v_mul_f64 v[32:33], v[32:33], s[22:23]
	v_add_f64 v[58:59], v[78:79], v[58:59]
	v_fma_f64 v[78:79], s[14:15], v[52:53], v[32:33]
	v_mul_f64 v[30:31], v[30:31], s[22:23]
	v_add_f64 v[60:61], v[78:79], v[60:61]
	v_fma_f64 v[78:79], v[50:51], s[14:15], -v[30:31]
	v_add_f64 v[58:59], v[78:79], v[58:59]
	v_mul_f64 v[78:79], v[24:25], s[28:29]
	v_fma_f64 v[24:25], s[0:1], v[48:49], v[78:79]
	v_add_f64 v[24:25], v[24:25], v[60:61]
	v_mul_f64 v[60:61], v[22:23], s[28:29]
	v_fma_f64 v[40:41], v[44:45], s[4:5], -v[40:41]
	v_fmac_f64_e32 v[38:39], s[4:5], v[42:43]
	v_fma_f64 v[22:23], v[46:47], s[0:1], -v[60:61]
	v_mul_f64 v[28:29], v[28:29], s[18:19]
	v_add_f64 v[40:41], v[40:41], v[56:57]
	v_add_f64 v[38:39], v[38:39], v[54:55]
	v_fma_f64 v[32:33], v[52:53], s[14:15], -v[32:33]
	v_fmac_f64_e32 v[30:31], s[14:15], v[50:51]
	v_and_b32_e32 v0, 32, v0
	v_add_f64 v[22:23], v[22:23], v[58:59]
	v_fma_f64 v[58:59], s[12:13], v[36:37], v[28:29]
	v_mul_f64 v[26:27], v[26:27], s[18:19]
	v_add_f64 v[32:33], v[32:33], v[40:41]
	v_add_f64 v[30:31], v[30:31], v[38:39]
	v_fma_f64 v[38:39], v[48:49], s[0:1], -v[78:79]
	v_fmac_f64_e32 v[60:61], s[0:1], v[46:47]
	v_mov_b32_e32 v1, 0x1a0
	v_cmp_ne_u32_e64 s[0:1], 0, v0
	v_add_f64 v[24:25], v[58:59], v[24:25]
	v_fma_f64 v[58:59], v[34:35], s[12:13], -v[26:27]
	v_mul_f64 v[72:73], v[72:73], s[30:31]
	v_add_f64 v[32:33], v[38:39], v[32:33]
	v_fma_f64 v[28:29], v[36:37], s[12:13], -v[28:29]
	v_cndmask_b32_e64 v54, 0, v1, s[0:1]
	v_add_f64 v[58:59], v[58:59], v[22:23]
	v_fma_f64 v[22:23], s[10:11], v[64:65], v[72:73]
	v_mul_f64 v[70:71], v[70:71], s[30:31]
	v_add_f64 v[30:31], v[60:61], v[30:31]
	v_add_f64 v[28:29], v[28:29], v[32:33]
	v_fmac_f64_e32 v[26:27], s[12:13], v[34:35]
	v_fma_f64 v[0:1], v[64:65], s[10:11], -v[72:73]
	v_lshl_add_u32 v34, v54, 4, 0
	s_movk_i32 s0, 0xd0
	v_add_f64 v[22:23], v[22:23], v[24:25]
	v_fma_f64 v[24:25], v[62:63], s[10:11], -v[70:71]
	v_add_f64 v[30:31], v[26:27], v[30:31]
	v_add_f64 v[26:27], v[0:1], v[28:29]
	v_fmac_f64_e32 v[70:71], s[10:11], v[62:63]
	v_mad_u32_u24 v0, v80, s0, v34
	s_movk_i32 s0, 0xff40
	v_add_f64 v[24:25], v[24:25], v[58:59]
	s_load_dwordx2 s[4:5], s[2:3], 0x0
	v_add_f64 v[28:29], v[70:71], v[30:31]
	ds_write_b128 v0, v[2:5]
	ds_write_b128 v0, v[10:13] offset:16
	ds_write_b128 v0, v[18:21] offset:32
	;; [unrolled: 1-line block ×12, first 2 shown]
	v_lshl_add_u32 v59, v80, 4, v34
	v_mad_i32_i24 v58, v80, s0, v0
	v_lshl_add_u32 v5, v82, 4, v34
	s_waitcnt lgkmcnt(0)
	; wave barrier
	s_waitcnt lgkmcnt(0)
	ds_read_b128 v[0:3], v59
	ds_read_b128 v[46:49], v58 offset:3328
	v_lshl_add_u32 v4, v81, 4, v34
	ds_read_b128 v[10:13], v58 offset:3840
	ds_read_b128 v[14:17], v58 offset:4352
	v_lshl_add_u32 v22, v83, 4, v34
	ds_read_b128 v[18:21], v5
	ds_read_b128 v[26:29], v22
	v_lshl_add_u32 v5, v84, 4, v34
	v_lshl_add_u32 v34, v85, 4, v34
	ds_read_b128 v[22:25], v58 offset:4864
	ds_read_b128 v[30:33], v58 offset:5376
	ds_read_b128 v[50:53], v5
	ds_read_b128 v[42:45], v34
	;; [unrolled: 1-line block ×3, first 2 shown]
	ds_read_b128 v[34:37], v58 offset:5888
	s_movk_i32 s10, 0x1a0
	v_cmp_gt_u32_e64 s[0:1], 16, v80
	v_lshlrev_b32_e32 v60, 4, v54
                                        ; implicit-def: $vgpr56_vgpr57
	s_and_saveexec_b64 s[2:3], s[0:1]
	s_cbranch_execz .LBB0_15
; %bb.14:
	v_lshlrev_b32_e32 v4, 4, v86
	v_add3_u32 v4, 0, v4, v60
	ds_read_b128 v[6:9], v4
	ds_read_b128 v[54:57], v58 offset:6400
.LBB0_15:
	s_or_b64 exec, exec, s[2:3]
	s_movk_i32 s2, 0x4f
	v_mul_lo_u16_sdwa v4, v80, s2 dst_sel:DWORD dst_unused:UNUSED_PAD src0_sel:BYTE_0 src1_sel:DWORD
	v_lshrrev_b16_e32 v63, 10, v4
	v_mul_lo_u16_e32 v4, 13, v63
	v_sub_u16_e32 v4, v80, v4
	v_mov_b32_e32 v5, 4
	v_lshlrev_b32_sdwa v108, v5, v4 dst_sel:DWORD dst_unused:UNUSED_PAD src0_sel:DWORD src1_sel:BYTE_0
	v_mul_lo_u16_sdwa v4, v81, s2 dst_sel:DWORD dst_unused:UNUSED_PAD src0_sel:BYTE_0 src1_sel:DWORD
	v_lshrrev_b16_e32 v109, 10, v4
	v_mul_lo_u16_e32 v4, 13, v109
	v_sub_u16_e32 v4, v81, v4
	v_lshlrev_b32_sdwa v81, v5, v4 dst_sel:DWORD dst_unused:UNUSED_PAD src0_sel:DWORD src1_sel:BYTE_0
	v_mul_lo_u16_sdwa v4, v82, s2 dst_sel:DWORD dst_unused:UNUSED_PAD src0_sel:BYTE_0 src1_sel:DWORD
	v_lshrrev_b16_e32 v110, 10, v4
	v_mul_lo_u16_e32 v4, 13, v110
	v_sub_u16_e32 v4, v82, v4
	;; [unrolled: 5-line block ×5, first 2 shown]
	v_lshlrev_b32_sdwa v117, v5, v4 dst_sel:DWORD dst_unused:UNUSED_PAD src0_sel:DWORD src1_sel:BYTE_0
	v_mul_lo_u16_sdwa v4, v86, s2 dst_sel:DWORD dst_unused:UNUSED_PAD src0_sel:BYTE_0 src1_sel:DWORD
	v_lshrrev_b16_e32 v61, 10, v4
	v_mul_lo_u16_e32 v4, 13, v61
	global_load_dwordx4 v[70:73], v108, s[8:9]
	global_load_dwordx4 v[74:77], v81, s[8:9]
	;; [unrolled: 1-line block ×4, first 2 shown]
	v_sub_u16_e32 v4, v86, v4
	global_load_dwordx4 v[82:85], v115, s[8:9]
	global_load_dwordx4 v[96:99], v117, s[8:9]
	v_lshlrev_b32_sdwa v62, v5, v4 dst_sel:DWORD dst_unused:UNUSED_PAD src0_sel:DWORD src1_sel:BYTE_0
	global_load_dwordx4 v[100:103], v62, s[8:9]
	s_waitcnt lgkmcnt(0)
	; wave barrier
	s_waitcnt vmcnt(6) lgkmcnt(0)
	v_mul_f64 v[4:5], v[48:49], v[72:73]
	v_mul_f64 v[64:65], v[46:47], v[72:73]
	s_waitcnt vmcnt(5)
	v_mul_f64 v[72:73], v[12:13], v[76:77]
	v_mul_f64 v[76:77], v[10:11], v[76:77]
	s_waitcnt vmcnt(4)
	;; [unrolled: 3-line block ×5, first 2 shown]
	v_mul_f64 v[106:107], v[36:37], v[98:99]
	v_mul_f64 v[98:99], v[34:35], v[98:99]
	v_fmac_f64_e32 v[4:5], v[46:47], v[70:71]
	v_fma_f64 v[46:47], v[48:49], v[70:71], -v[64:65]
	v_fmac_f64_e32 v[72:73], v[10:11], v[74:75]
	v_fma_f64 v[70:71], v[12:13], v[74:75], -v[76:77]
	;; [unrolled: 2-line block ×4, first 2 shown]
	s_waitcnt vmcnt(0)
	v_mul_f64 v[64:65], v[56:57], v[102:103]
	v_mul_f64 v[48:49], v[54:55], v[102:103]
	v_fmac_f64_e32 v[106:107], v[34:35], v[96:97]
	v_fma_f64 v[76:77], v[36:37], v[96:97], -v[98:99]
	v_add_f64 v[34:35], v[26:27], -v[90:91]
	v_add_f64 v[36:37], v[28:29], -v[74:75]
	;; [unrolled: 1-line block ×4, first 2 shown]
	v_fmac_f64_e32 v[64:65], v[54:55], v[100:101]
	v_fma_f64 v[82:83], v[56:57], v[100:101], -v[48:49]
	v_add_f64 v[12:13], v[2:3], -v[46:47]
	v_fma_f64 v[46:47], v[26:27], 2.0, -v[34:35]
	v_fma_f64 v[48:49], v[28:29], 2.0, -v[36:37]
	;; [unrolled: 1-line block ×4, first 2 shown]
	v_add_f64 v[50:51], v[42:43], -v[106:107]
	v_add_f64 v[52:53], v[44:45], -v[76:77]
	v_fma_f64 v[54:55], v[42:43], 2.0, -v[50:51]
	v_fma_f64 v[56:57], v[44:45], 2.0, -v[52:53]
	v_add_f64 v[42:43], v[6:7], -v[64:65]
	v_add_f64 v[44:45], v[8:9], -v[82:83]
	;; [unrolled: 1-line block ×3, first 2 shown]
	v_fma_f64 v[4:5], v[6:7], 2.0, -v[42:43]
	v_fma_f64 v[6:7], v[8:9], 2.0, -v[44:45]
	v_mad_u32_u24 v8, v63, s10, 0
	v_fma_f64 v[0:1], v[0:1], 2.0, -v[10:11]
	v_fma_f64 v[2:3], v[2:3], 2.0, -v[12:13]
	v_add3_u32 v8, v8, v108, v60
	v_add_f64 v[22:23], v[38:39], -v[72:73]
	v_add_f64 v[24:25], v[40:41], -v[70:71]
	ds_write_b128 v8, v[0:3]
	ds_write_b128 v8, v[10:13] offset:208
	v_mad_u32_u24 v8, v109, s10, 0
	v_fmac_f64_e32 v[78:79], v[14:15], v[88:89]
	v_fma_f64 v[16:17], v[16:17], v[88:89], -v[86:87]
	v_fma_f64 v[38:39], v[38:39], 2.0, -v[22:23]
	v_fma_f64 v[40:41], v[40:41], 2.0, -v[24:25]
	v_add3_u32 v8, v8, v81, v60
	v_add_f64 v[14:15], v[18:19], -v[78:79]
	v_add_f64 v[16:17], v[20:21], -v[16:17]
	ds_write_b128 v8, v[38:41]
	ds_write_b128 v8, v[22:25] offset:208
	v_mad_u32_u24 v8, v110, s10, 0
	v_fma_f64 v[18:19], v[18:19], 2.0, -v[14:15]
	v_fma_f64 v[20:21], v[20:21], 2.0, -v[16:17]
	v_add3_u32 v8, v8, v111, v60
	ds_write_b128 v8, v[18:21]
	ds_write_b128 v8, v[14:17] offset:208
	v_mad_u32_u24 v8, v112, s10, 0
	v_add3_u32 v8, v8, v113, v60
	ds_write_b128 v8, v[46:49]
	ds_write_b128 v8, v[34:37] offset:208
	v_mad_u32_u24 v8, v114, s10, 0
	;; [unrolled: 4-line block ×3, first 2 shown]
	v_add3_u32 v8, v8, v117, v60
	ds_write_b128 v8, v[54:57]
	ds_write_b128 v8, v[50:53] offset:208
	s_and_saveexec_b64 s[2:3], s[0:1]
	s_cbranch_execz .LBB0_17
; %bb.16:
	s_movk_i32 s0, 0x1a0
	v_mad_u32_u24 v8, v61, s0, 0
	v_add3_u32 v8, v8, v62, v60
	ds_write_b128 v8, v[4:7]
	ds_write_b128 v8, v[42:45] offset:208
.LBB0_17:
	s_or_b64 exec, exec, s[2:3]
	v_cmp_gt_u32_e64 s[0:1], 26, v80
	s_waitcnt lgkmcnt(0)
	; wave barrier
	s_waitcnt lgkmcnt(0)
                                        ; implicit-def: $vgpr64_vgpr65
                                        ; implicit-def: $vgpr60_vgpr61
	s_and_saveexec_b64 s[2:3], s[0:1]
	s_cbranch_execz .LBB0_19
; %bb.18:
	ds_read_b128 v[0:3], v59
	ds_read_b128 v[10:13], v58 offset:416
	ds_read_b128 v[38:41], v58 offset:832
	;; [unrolled: 1-line block ×15, first 2 shown]
.LBB0_19:
	s_or_b64 exec, exec, s[2:3]
	v_cmp_gt_u32_e64 s[2:3], 26, v80
	s_and_b64 s[2:3], vcc, s[2:3]
	s_and_saveexec_b64 s[10:11], s[2:3]
	s_cbranch_execz .LBB0_21
; %bb.20:
	v_subrev_u32_e32 v8, 26, v80
	v_cndmask_b32_e64 v8, v8, v80, s[0:1]
	v_mul_i32_i24_e32 v8, 15, v8
	v_mov_b32_e32 v9, 0
	v_lshl_add_u64 v[8:9], v[8:9], 4, s[8:9]
	global_load_dwordx4 v[70:73], v[8:9], off offset:224
	global_load_dwordx4 v[74:77], v[8:9], off offset:352
	;; [unrolled: 1-line block ×12, first 2 shown]
	s_mov_b32 s3, 0xbfe6a09e
	s_mov_b32 s8, 0xcf328d46
	;; [unrolled: 1-line block ×6, first 2 shown]
	s_waitcnt vmcnt(11) lgkmcnt(13)
	v_mul_f64 v[78:79], v[38:39], v[72:73]
	v_mul_f64 v[122:123], v[40:41], v[72:73]
	v_fma_f64 v[40:41], v[40:41], v[70:71], -v[78:79]
	v_fmac_f64_e32 v[122:123], v[38:39], v[70:71]
	global_load_dwordx4 v[70:73], v[8:9], off offset:272
	s_waitcnt vmcnt(11) lgkmcnt(5)
	v_mul_f64 v[38:39], v[54:55], v[76:77]
	v_mul_f64 v[76:77], v[56:57], v[76:77]
	v_fma_f64 v[78:79], v[56:57], v[74:75], -v[38:39]
	v_fmac_f64_e32 v[76:77], v[54:55], v[74:75]
	global_load_dwordx4 v[54:57], v[8:9], off offset:400
	s_waitcnt vmcnt(11)
	v_mul_f64 v[74:75], v[48:49], v[84:85]
	v_mul_f64 v[38:39], v[46:47], v[84:85]
	v_fmac_f64_e32 v[74:75], v[46:47], v[82:83]
	v_fma_f64 v[82:83], v[48:49], v[82:83], -v[38:39]
	global_load_dwordx4 v[46:49], v[8:9], off offset:432
	v_mul_lo_u32 v8, s5, v68
	v_mul_lo_u32 v9, s4, v69
	v_mad_u64_u32 v[38:39], s[0:1], s4, v68, 0
	v_add3_u32 v39, v39, v9, v8
	s_waitcnt vmcnt(11) lgkmcnt(1)
	v_mul_f64 v[8:9], v[64:65], v[88:89]
	v_mul_f64 v[84:85], v[62:63], v[88:89]
	s_waitcnt vmcnt(8)
	v_mul_f64 v[88:89], v[24:25], v[100:101]
	v_fmac_f64_e32 v[8:9], v[62:63], v[86:87]
	v_fma_f64 v[62:63], v[64:65], v[86:87], -v[84:85]
	v_mul_f64 v[86:87], v[22:23], v[100:101]
	v_fmac_f64_e32 v[88:89], v[22:23], v[98:99]
	s_waitcnt vmcnt(7)
	v_mul_f64 v[22:23], v[10:11], v[104:105]
	v_mul_f64 v[104:105], v[12:13], v[104:105]
	v_fmac_f64_e32 v[104:105], v[10:11], v[102:103]
	s_waitcnt vmcnt(4)
	v_mul_f64 v[10:11], v[32:33], v[116:117]
	v_mul_f64 v[100:101], v[52:53], v[112:113]
	v_fmac_f64_e32 v[10:11], v[30:31], v[114:115]
	v_fma_f64 v[24:25], v[24:25], v[98:99], -v[86:87]
	v_mul_f64 v[86:87], v[30:31], v[116:117]
	v_mul_f64 v[98:99], v[50:51], v[112:113]
	v_fmac_f64_e32 v[100:101], v[50:51], v[110:111]
	v_add_f64 v[30:31], v[104:105], -v[10:11]
	v_mul_f64 v[84:85], v[6:7], v[108:109]
	v_mul_f64 v[68:69], v[26:27], v[92:93]
	;; [unrolled: 1-line block ×3, first 2 shown]
	v_fma_f64 v[52:53], v[52:53], v[110:111], -v[98:99]
	s_waitcnt vmcnt(3)
	v_mul_f64 v[110:111], v[36:37], v[120:121]
	v_mul_f64 v[112:113], v[34:35], v[120:121]
	v_fmac_f64_e32 v[84:85], v[4:5], v[106:107]
	v_mul_f64 v[4:5], v[4:5], v[108:109]
	v_fmac_f64_e32 v[110:111], v[34:35], v[118:119]
	v_fma_f64 v[34:35], v[36:37], v[118:119], -v[112:113]
	v_fma_f64 v[68:69], v[28:29], v[90:91], -v[68:69]
	v_fmac_f64_e32 v[64:65], v[18:19], v[94:95]
	v_fma_f64 v[4:5], v[6:7], v[106:107], -v[4:5]
	v_mul_f64 v[6:7], v[28:29], v[92:93]
	v_fmac_f64_e32 v[6:7], v[26:27], v[90:91]
	v_add_f64 v[76:77], v[122:123], -v[76:77]
	v_add_f64 v[26:27], v[0:1], -v[6:7]
	v_fma_f64 v[22:23], v[12:13], v[102:103], -v[22:23]
	v_fma_f64 v[86:87], v[32:33], v[114:115], -v[86:87]
	v_add_f64 v[52:53], v[24:25], -v[52:53]
	v_fma_f64 v[92:93], v[104:105], 2.0, -v[30:31]
	s_mov_b32 s0, 0x667f3bcd
	v_add_f64 v[62:63], v[82:83], -v[62:63]
	v_add_f64 v[100:101], v[88:89], -v[100:101]
	s_mov_b32 s1, 0x3fe6a09e
	v_fma_f64 v[32:33], v[88:89], 2.0, -v[100:101]
	v_add_f64 v[112:113], v[76:77], v[62:63]
	s_mov_b32 s2, s0
	s_mov_b32 s4, 0xa6aea964
	;; [unrolled: 1-line block ×4, first 2 shown]
	v_lshl_add_u64 v[38:39], v[38:39], 4, s[6:7]
	v_lshl_add_u64 v[38:39], v[66:67], 4, v[38:39]
	s_waitcnt vmcnt(2)
	v_mul_f64 v[50:51], v[16:17], v[72:73]
	v_mul_f64 v[10:11], v[14:15], v[72:73]
	v_fmac_f64_e32 v[50:51], v[14:15], v[70:71]
	v_fma_f64 v[14:15], v[16:17], v[70:71], -v[10:11]
	v_fma_f64 v[70:71], v[122:123], 2.0, -v[76:77]
	s_waitcnt vmcnt(1)
	v_mul_f64 v[10:11], v[42:43], v[56:57]
	v_fma_f64 v[10:11], v[44:45], v[54:55], -v[10:11]
	v_add_f64 v[16:17], v[14:15], -v[10:11]
	v_mul_f64 v[10:11], v[18:19], v[96:97]
	v_fma_f64 v[18:19], v[20:21], v[94:95], -v[10:11]
	s_waitcnt vmcnt(0) lgkmcnt(0)
	v_mul_f64 v[36:37], v[60:61], v[48:49]
	v_mul_f64 v[48:49], v[58:59], v[48:49]
	;; [unrolled: 1-line block ×3, first 2 shown]
	v_fmac_f64_e32 v[36:37], v[58:59], v[46:47]
	v_fma_f64 v[46:47], v[60:61], v[46:47], -v[48:49]
	v_add_f64 v[60:61], v[2:3], -v[68:69]
	v_add_f64 v[4:5], v[18:19], -v[4:5]
	v_fmac_f64_e32 v[98:99], v[42:43], v[54:55]
	v_add_f64 v[58:59], v[74:75], -v[8:9]
	v_fma_f64 v[28:29], v[2:3], 2.0, -v[60:61]
	v_fma_f64 v[2:3], v[18:19], 2.0, -v[4:5]
	v_add_f64 v[48:49], v[40:41], -v[78:79]
	v_add_f64 v[68:69], v[64:65], -v[84:85]
	;; [unrolled: 1-line block ×3, first 2 shown]
	v_add_f64 v[54:55], v[26:27], v[4:5]
	v_add_f64 v[4:5], v[28:29], -v[2:3]
	v_fma_f64 v[2:3], v[74:75], 2.0, -v[58:59]
	v_add_f64 v[78:79], v[22:23], -v[86:87]
	v_add_f64 v[86:87], v[48:49], -v[58:59]
	v_add_f64 v[46:47], v[34:35], -v[46:47]
	v_add_f64 v[58:59], v[70:71], -v[2:3]
	v_fma_f64 v[2:3], v[14:15], 2.0, -v[16:17]
	v_fma_f64 v[14:15], v[50:51], 2.0, -v[84:85]
	v_add_f64 v[118:119], v[78:79], -v[84:85]
	v_add_f64 v[50:51], v[92:93], -v[14:15]
	v_fma_f64 v[84:85], v[24:25], 2.0, -v[52:53]
	v_fma_f64 v[14:15], v[34:35], 2.0, -v[46:47]
	v_add_f64 v[36:37], v[110:111], -v[36:37]
	v_add_f64 v[126:127], v[100:101], v[46:47]
	v_add_f64 v[42:43], v[30:31], v[16:17]
	v_fma_f64 v[74:75], v[22:23], 2.0, -v[78:79]
	v_add_f64 v[34:35], v[84:85], -v[14:15]
	v_fma_f64 v[40:41], v[40:41], 2.0, -v[48:49]
	v_fma_f64 v[14:15], v[82:83], 2.0, -v[62:63]
	v_add_f64 v[102:103], v[52:53], -v[36:37]
	v_fma_f64 v[44:45], s[0:1], v[126:127], v[42:43]
	v_add_f64 v[90:91], v[74:75], -v[2:3]
	v_fma_f64 v[2:3], v[110:111], 2.0, -v[36:37]
	v_add_f64 v[46:47], v[40:41], -v[14:15]
	v_add_f64 v[98:99], v[60:61], -v[68:69]
	v_fma_f64 v[124:125], s[0:1], v[102:103], v[118:119]
	v_fmac_f64_e32 v[44:45], s[0:1], v[102:103]
	v_add_f64 v[36:37], v[32:33], -v[2:3]
	v_fma_f64 v[62:63], v[0:1], 2.0, -v[26:27]
	v_fma_f64 v[0:1], v[64:65], 2.0, -v[68:69]
	;; [unrolled: 1-line block ×6, first 2 shown]
	v_fma_f64 v[120:121], s[0:1], v[86:87], v[98:99]
	v_add_f64 v[64:65], v[62:63], -v[0:1]
	v_add_f64 v[104:105], v[102:103], -v[26:27]
	v_fma_f64 v[92:93], v[92:93], 2.0, -v[50:51]
	v_fma_f64 v[26:27], v[32:33], 2.0, -v[36:37]
	v_fmac_f64_e32 v[120:121], s[2:3], v[112:113]
	v_fmac_f64_e32 v[124:125], s[2:3], v[126:127]
	v_fma_f64 v[56:57], s[0:1], v[112:113], v[54:55]
	v_add_f64 v[106:107], v[92:93], -v[26:27]
	v_fma_f64 v[108:109], v[62:63], 2.0, -v[64:65]
	v_fma_f64 v[26:27], v[70:71], 2.0, -v[58:59]
	v_fma_f64 v[8:9], s[8:9], v[124:125], v[120:121]
	v_fmac_f64_e32 v[56:57], s[0:1], v[86:87]
	v_add_f64 v[94:95], v[50:51], v[34:35]
	v_add_f64 v[110:111], v[108:109], -v[26:27]
	v_fma_f64 v[26:27], v[84:85], 2.0, -v[34:35]
	v_fma_f64 v[34:35], v[98:99], 2.0, -v[120:121]
	v_fma_f64 v[40:41], v[118:119], 2.0, -v[124:125]
	v_fmac_f64_e32 v[8:9], s[4:5], v[44:45]
	v_fma_f64 v[6:7], s[8:9], v[44:45], v[56:57]
	v_add_f64 v[88:89], v[90:91], -v[36:37]
	v_fma_f64 v[36:37], s[4:5], v[40:41], v[34:35]
	v_fma_f64 v[44:45], v[42:43], 2.0, -v[44:45]
	v_add_f64 v[68:69], v[46:47], v[64:65]
	v_fma_f64 v[22:23], v[76:77], 2.0, -v[112:113]
	v_fma_f64 v[76:77], v[78:79], 2.0, -v[118:119]
	v_fmac_f64_e32 v[36:37], s[12:13], v[44:45]
	v_fma_f64 v[46:47], v[54:55], 2.0, -v[56:57]
	v_add_f64 v[72:73], v[4:5], -v[58:59]
	v_fma_f64 v[14:15], v[48:49], 2.0, -v[86:87]
	v_fma_f64 v[52:53], s[2:3], v[24:25], v[76:77]
	v_fma_f64 v[48:49], v[100:101], 2.0, -v[126:127]
	v_fma_f64 v[78:79], v[30:31], 2.0, -v[42:43]
	;; [unrolled: 1-line block ×3, first 2 shown]
	v_fma_f64 v[34:35], s[4:5], v[44:45], v[46:47]
	v_fmac_f64_e32 v[52:53], s[2:3], v[48:49]
	v_fma_f64 v[86:87], s[2:3], v[48:49], v[78:79]
	v_fmac_f64_e32 v[34:35], s[8:9], v[40:41]
	v_fma_f64 v[4:5], v[4:5], 2.0, -v[72:73]
	v_fma_f64 v[48:49], v[90:91], 2.0, -v[88:89]
	;; [unrolled: 1-line block ×3, first 2 shown]
	v_fma_f64 v[46:47], s[2:3], v[48:49], v[4:5]
	v_fma_f64 v[44:45], v[50:51], 2.0, -v[94:95]
	v_fmac_f64_e32 v[46:47], s[2:3], v[44:45]
	v_fma_f64 v[60:61], v[60:61], 2.0, -v[98:99]
	v_fma_f64 v[50:51], v[4:5], 2.0, -v[46:47]
	;; [unrolled: 1-line block ×3, first 2 shown]
	v_fma_f64 v[82:83], s[2:3], v[14:15], v[60:61]
	v_fma_f64 v[100:101], s[2:3], v[22:23], v[96:97]
	;; [unrolled: 1-line block ×3, first 2 shown]
	v_fmac_f64_e32 v[6:7], s[10:11], v[124:125]
	v_fmac_f64_e32 v[82:83], s[2:3], v[22:23]
	;; [unrolled: 1-line block ×5, first 2 shown]
	v_fma_f64 v[10:11], v[56:57], 2.0, -v[6:7]
	v_fma_f64 v[14:15], s[10:11], v[86:87], v[100:101]
	v_fma_f64 v[48:49], v[4:5], 2.0, -v[44:45]
	v_fma_f64 v[4:5], v[60:61], 2.0, -v[82:83]
	;; [unrolled: 1-line block ×3, first 2 shown]
	v_fma_f64 v[16:17], s[10:11], v[52:53], v[82:83]
	v_fmac_f64_e32 v[14:15], s[8:9], v[52:53]
	v_fma_f64 v[54:55], s[12:13], v[56:57], v[4:5]
	v_fma_f64 v[52:53], v[78:79], 2.0, -v[86:87]
	v_fmac_f64_e32 v[54:55], s[4:5], v[52:53]
	v_fma_f64 v[58:59], v[4:5], 2.0, -v[54:55]
	v_fma_f64 v[4:5], v[96:97], 2.0, -v[100:101]
	v_fma_f64 v[62:63], v[74:75], 2.0, -v[90:91]
	v_fma_f64 v[52:53], s[12:13], v[52:53], v[4:5]
	v_add_f64 v[70:71], v[62:63], -v[26:27]
	v_fmac_f64_e32 v[52:53], s[10:11], v[56:57]
	v_fma_f64 v[56:57], v[4:5], 2.0, -v[52:53]
	v_fma_f64 v[4:5], v[102:103], 2.0, -v[104:105]
	;; [unrolled: 1-line block ×3, first 2 shown]
	v_add_f64 v[62:63], v[4:5], -v[60:61]
	v_fma_f64 v[0:1], s[0:1], v[94:95], v[68:69]
	v_add_f64 v[26:27], v[110:111], v[70:71]
	v_fma_f64 v[70:71], v[4:5], 2.0, -v[62:63]
	v_fma_f64 v[4:5], v[108:109], 2.0, -v[110:111]
	;; [unrolled: 1-line block ×3, first 2 shown]
	v_fmac_f64_e32 v[0:1], s[0:1], v[88:89]
	v_add_f64 v[60:61], v[4:5], -v[60:61]
	v_fma_f64 v[2:3], s[0:1], v[88:89], v[72:73]
	v_fma_f64 v[18:19], v[68:69], 2.0, -v[0:1]
	v_fma_f64 v[68:69], v[4:5], 2.0, -v[60:61]
	v_mad_u64_u32 v[4:5], s[0:1], s16, v80, 0
	v_mov_b32_e32 v64, v5
	v_mad_u64_u32 v[64:65], s[0:1], s17, v80, v[64:65]
	v_mov_b32_e32 v5, v64
	v_lshl_add_u64 v[4:5], v[4:5], 4, v[38:39]
	v_add_u32_e32 v65, 26, v80
	global_store_dwordx4 v[4:5], v[68:71], off
	v_mad_u64_u32 v[4:5], s[0:1], s16, v65, 0
	v_mov_b32_e32 v64, v5
	v_mad_u64_u32 v[64:65], s[0:1], s17, v65, v[64:65]
	v_mov_b32_e32 v5, v64
	v_lshl_add_u64 v[4:5], v[4:5], 4, v[38:39]
	global_store_dwordx4 v[4:5], v[56:59], off
	v_add_f64 v[28:29], v[104:105], -v[106:107]
	v_fma_f64 v[32:33], v[104:105], 2.0, -v[28:29]
	v_add_u32_e32 v57, 52, v80
	v_mad_u64_u32 v[4:5], s[0:1], s16, v57, 0
	v_mov_b32_e32 v56, v5
	v_mad_u64_u32 v[56:57], s[0:1], s17, v57, v[56:57]
	v_mov_b32_e32 v5, v56
	v_lshl_add_u64 v[4:5], v[4:5], 4, v[38:39]
	global_store_dwordx4 v[4:5], v[48:51], off
	v_fma_f64 v[30:31], v[110:111], 2.0, -v[26:27]
	v_fmac_f64_e32 v[16:17], s[12:13], v[86:87]
	v_add_u32_e32 v49, 0x4e, v80
	v_mad_u64_u32 v[4:5], s[0:1], s16, v49, 0
	v_mov_b32_e32 v48, v5
	v_mad_u64_u32 v[48:49], s[0:1], s17, v49, v[48:49]
	v_mov_b32_e32 v5, v48
	v_lshl_add_u64 v[4:5], v[4:5], 4, v[38:39]
	global_store_dwordx4 v[4:5], v[40:43], off
	v_fma_f64 v[24:25], v[82:83], 2.0, -v[16:17]
	v_fma_f64 v[22:23], v[100:101], 2.0, -v[14:15]
	v_add_u32_e32 v41, 0x68, v80
	v_mad_u64_u32 v[4:5], s[0:1], s16, v41, 0
	v_mov_b32_e32 v40, v5
	v_mad_u64_u32 v[40:41], s[0:1], s17, v41, v[40:41]
	v_mov_b32_e32 v5, v40
	v_lshl_add_u64 v[4:5], v[4:5], 4, v[38:39]
	global_store_dwordx4 v[4:5], v[30:33], off
	v_fmac_f64_e32 v[2:3], s[2:3], v[94:95]
	v_fma_f64 v[20:21], v[72:73], 2.0, -v[2:3]
	v_add_u32_e32 v31, 0x82, v80
	v_mad_u64_u32 v[4:5], s[0:1], s16, v31, 0
	v_mov_b32_e32 v30, v5
	v_mad_u64_u32 v[30:31], s[0:1], s17, v31, v[30:31]
	v_mov_b32_e32 v5, v30
	v_lshl_add_u64 v[4:5], v[4:5], 4, v[38:39]
	global_store_dwordx4 v[4:5], v[22:25], off
	v_fma_f64 v[12:13], v[120:121], 2.0, -v[8:9]
	s_nop 0
	v_add_u32_e32 v23, 0x9c, v80
	v_mad_u64_u32 v[4:5], s[0:1], s16, v23, 0
	v_mov_b32_e32 v22, v5
	v_mad_u64_u32 v[22:23], s[0:1], s17, v23, v[22:23]
	v_mov_b32_e32 v5, v22
	v_lshl_add_u64 v[4:5], v[4:5], 4, v[38:39]
	global_store_dwordx4 v[4:5], v[18:21], off
	s_nop 1
	v_add_u32_e32 v19, 0xb6, v80
	v_mad_u64_u32 v[4:5], s[0:1], s16, v19, 0
	v_mov_b32_e32 v18, v5
	v_mad_u64_u32 v[18:19], s[0:1], s17, v19, v[18:19]
	v_mov_b32_e32 v5, v18
	v_lshl_add_u64 v[4:5], v[4:5], 4, v[38:39]
	global_store_dwordx4 v[4:5], v[10:13], off
	s_nop 1
	v_add_u32_e32 v11, 0xd0, v80
	v_mad_u64_u32 v[4:5], s[0:1], s16, v11, 0
	v_mov_b32_e32 v10, v5
	v_mad_u64_u32 v[10:11], s[0:1], s17, v11, v[10:11]
	v_mov_b32_e32 v5, v10
	v_lshl_add_u64 v[4:5], v[4:5], 4, v[38:39]
	v_add_u32_e32 v11, 0xea, v80
	global_store_dwordx4 v[4:5], v[60:63], off
	v_mad_u64_u32 v[4:5], s[0:1], s16, v11, 0
	v_mov_b32_e32 v10, v5
	v_mad_u64_u32 v[10:11], s[0:1], s17, v11, v[10:11]
	v_mov_b32_e32 v5, v10
	v_lshl_add_u64 v[4:5], v[4:5], 4, v[38:39]
	v_add_u32_e32 v11, 0x104, v80
	global_store_dwordx4 v[4:5], v[52:55], off
	;; [unrolled: 7-line block ×6, first 2 shown]
	v_mad_u64_u32 v[4:5], s[0:1], s16, v11, 0
	v_mov_b32_e32 v10, v5
	v_mad_u64_u32 v[10:11], s[0:1], s17, v11, v[10:11]
	v_mov_b32_e32 v5, v10
	v_lshl_add_u64 v[4:5], v[4:5], 4, v[38:39]
	global_store_dwordx4 v[4:5], v[0:3], off
	s_nop 1
	v_add_u32_e32 v3, 0x186, v80
	v_mad_u64_u32 v[0:1], s[0:1], s16, v3, 0
	v_mov_b32_e32 v2, v1
	v_mad_u64_u32 v[2:3], s[0:1], s17, v3, v[2:3]
	v_mov_b32_e32 v1, v2
	v_lshl_add_u64 v[0:1], v[0:1], 4, v[38:39]
	global_store_dwordx4 v[0:1], v[6:9], off
.LBB0_21:
	s_endpgm
	.section	.rodata,"a",@progbits
	.p2align	6, 0x0
	.amdhsa_kernel fft_rtc_back_len416_factors_13_2_16_wgs_64_tpt_32_dp_op_CI_CI_sbrr_dirReg
		.amdhsa_group_segment_fixed_size 0
		.amdhsa_private_segment_fixed_size 0
		.amdhsa_kernarg_size 104
		.amdhsa_user_sgpr_count 2
		.amdhsa_user_sgpr_dispatch_ptr 0
		.amdhsa_user_sgpr_queue_ptr 0
		.amdhsa_user_sgpr_kernarg_segment_ptr 1
		.amdhsa_user_sgpr_dispatch_id 0
		.amdhsa_user_sgpr_kernarg_preload_length 0
		.amdhsa_user_sgpr_kernarg_preload_offset 0
		.amdhsa_user_sgpr_private_segment_size 0
		.amdhsa_uses_dynamic_stack 0
		.amdhsa_enable_private_segment 0
		.amdhsa_system_sgpr_workgroup_id_x 1
		.amdhsa_system_sgpr_workgroup_id_y 0
		.amdhsa_system_sgpr_workgroup_id_z 0
		.amdhsa_system_sgpr_workgroup_info 0
		.amdhsa_system_vgpr_workitem_id 0
		.amdhsa_next_free_vgpr 128
		.amdhsa_next_free_sgpr 40
		.amdhsa_accum_offset 128
		.amdhsa_reserve_vcc 1
		.amdhsa_float_round_mode_32 0
		.amdhsa_float_round_mode_16_64 0
		.amdhsa_float_denorm_mode_32 3
		.amdhsa_float_denorm_mode_16_64 3
		.amdhsa_dx10_clamp 1
		.amdhsa_ieee_mode 1
		.amdhsa_fp16_overflow 0
		.amdhsa_tg_split 0
		.amdhsa_exception_fp_ieee_invalid_op 0
		.amdhsa_exception_fp_denorm_src 0
		.amdhsa_exception_fp_ieee_div_zero 0
		.amdhsa_exception_fp_ieee_overflow 0
		.amdhsa_exception_fp_ieee_underflow 0
		.amdhsa_exception_fp_ieee_inexact 0
		.amdhsa_exception_int_div_zero 0
	.end_amdhsa_kernel
	.text
.Lfunc_end0:
	.size	fft_rtc_back_len416_factors_13_2_16_wgs_64_tpt_32_dp_op_CI_CI_sbrr_dirReg, .Lfunc_end0-fft_rtc_back_len416_factors_13_2_16_wgs_64_tpt_32_dp_op_CI_CI_sbrr_dirReg
                                        ; -- End function
	.section	.AMDGPU.csdata,"",@progbits
; Kernel info:
; codeLenInByte = 9500
; NumSgprs: 46
; NumVgprs: 128
; NumAgprs: 0
; TotalNumVgprs: 128
; ScratchSize: 0
; MemoryBound: 1
; FloatMode: 240
; IeeeMode: 1
; LDSByteSize: 0 bytes/workgroup (compile time only)
; SGPRBlocks: 5
; VGPRBlocks: 15
; NumSGPRsForWavesPerEU: 46
; NumVGPRsForWavesPerEU: 128
; AccumOffset: 128
; Occupancy: 4
; WaveLimiterHint : 1
; COMPUTE_PGM_RSRC2:SCRATCH_EN: 0
; COMPUTE_PGM_RSRC2:USER_SGPR: 2
; COMPUTE_PGM_RSRC2:TRAP_HANDLER: 0
; COMPUTE_PGM_RSRC2:TGID_X_EN: 1
; COMPUTE_PGM_RSRC2:TGID_Y_EN: 0
; COMPUTE_PGM_RSRC2:TGID_Z_EN: 0
; COMPUTE_PGM_RSRC2:TIDIG_COMP_CNT: 0
; COMPUTE_PGM_RSRC3_GFX90A:ACCUM_OFFSET: 31
; COMPUTE_PGM_RSRC3_GFX90A:TG_SPLIT: 0
	.text
	.p2alignl 6, 3212836864
	.fill 256, 4, 3212836864
	.type	__hip_cuid_a2582b837a6b2828,@object ; @__hip_cuid_a2582b837a6b2828
	.section	.bss,"aw",@nobits
	.globl	__hip_cuid_a2582b837a6b2828
__hip_cuid_a2582b837a6b2828:
	.byte	0                               ; 0x0
	.size	__hip_cuid_a2582b837a6b2828, 1

	.ident	"AMD clang version 19.0.0git (https://github.com/RadeonOpenCompute/llvm-project roc-6.4.0 25133 c7fe45cf4b819c5991fe208aaa96edf142730f1d)"
	.section	".note.GNU-stack","",@progbits
	.addrsig
	.addrsig_sym __hip_cuid_a2582b837a6b2828
	.amdgpu_metadata
---
amdhsa.kernels:
  - .agpr_count:     0
    .args:
      - .actual_access:  read_only
        .address_space:  global
        .offset:         0
        .size:           8
        .value_kind:     global_buffer
      - .offset:         8
        .size:           8
        .value_kind:     by_value
      - .actual_access:  read_only
        .address_space:  global
        .offset:         16
        .size:           8
        .value_kind:     global_buffer
      - .actual_access:  read_only
        .address_space:  global
        .offset:         24
        .size:           8
        .value_kind:     global_buffer
      - .actual_access:  read_only
        .address_space:  global
        .offset:         32
        .size:           8
        .value_kind:     global_buffer
      - .offset:         40
        .size:           8
        .value_kind:     by_value
      - .actual_access:  read_only
        .address_space:  global
        .offset:         48
        .size:           8
        .value_kind:     global_buffer
      - .actual_access:  read_only
        .address_space:  global
        .offset:         56
        .size:           8
        .value_kind:     global_buffer
      - .offset:         64
        .size:           4
        .value_kind:     by_value
      - .actual_access:  read_only
        .address_space:  global
        .offset:         72
        .size:           8
        .value_kind:     global_buffer
      - .actual_access:  read_only
        .address_space:  global
        .offset:         80
        .size:           8
        .value_kind:     global_buffer
      - .actual_access:  read_only
        .address_space:  global
        .offset:         88
        .size:           8
        .value_kind:     global_buffer
      - .actual_access:  write_only
        .address_space:  global
        .offset:         96
        .size:           8
        .value_kind:     global_buffer
    .group_segment_fixed_size: 0
    .kernarg_segment_align: 8
    .kernarg_segment_size: 104
    .language:       OpenCL C
    .language_version:
      - 2
      - 0
    .max_flat_workgroup_size: 64
    .name:           fft_rtc_back_len416_factors_13_2_16_wgs_64_tpt_32_dp_op_CI_CI_sbrr_dirReg
    .private_segment_fixed_size: 0
    .sgpr_count:     46
    .sgpr_spill_count: 0
    .symbol:         fft_rtc_back_len416_factors_13_2_16_wgs_64_tpt_32_dp_op_CI_CI_sbrr_dirReg.kd
    .uniform_work_group_size: 1
    .uses_dynamic_stack: false
    .vgpr_count:     128
    .vgpr_spill_count: 0
    .wavefront_size: 64
amdhsa.target:   amdgcn-amd-amdhsa--gfx950
amdhsa.version:
  - 1
  - 2
...

	.end_amdgpu_metadata
